;; amdgpu-corpus repo=ROCm/rocFFT kind=compiled arch=gfx1030 opt=O3
	.text
	.amdgcn_target "amdgcn-amd-amdhsa--gfx1030"
	.amdhsa_code_object_version 6
	.protected	fft_rtc_back_len858_factors_13_11_6_wgs_234_tpt_78_halfLds_half_op_CI_CI_sbrr_dirReg ; -- Begin function fft_rtc_back_len858_factors_13_11_6_wgs_234_tpt_78_halfLds_half_op_CI_CI_sbrr_dirReg
	.globl	fft_rtc_back_len858_factors_13_11_6_wgs_234_tpt_78_halfLds_half_op_CI_CI_sbrr_dirReg
	.p2align	8
	.type	fft_rtc_back_len858_factors_13_11_6_wgs_234_tpt_78_halfLds_half_op_CI_CI_sbrr_dirReg,@function
fft_rtc_back_len858_factors_13_11_6_wgs_234_tpt_78_halfLds_half_op_CI_CI_sbrr_dirReg: ; @fft_rtc_back_len858_factors_13_11_6_wgs_234_tpt_78_halfLds_half_op_CI_CI_sbrr_dirReg
; %bb.0:
	s_clause 0x1
	s_load_dwordx4 s[16:19], s[4:5], 0x18
	s_load_dwordx4 s[8:11], s[4:5], 0x0
	v_mul_u32_u24_e32 v1, 0x349, v0
	v_mov_b32_e32 v9, 0
	v_mov_b32_e32 v7, 0
	v_mov_b32_e32 v8, 0
	s_load_dwordx4 s[12:15], s[4:5], 0x58
	s_waitcnt lgkmcnt(0)
	s_load_dwordx2 s[20:21], s[16:17], 0x0
	s_load_dwordx2 s[2:3], s[18:19], 0x0
	v_lshrrev_b32_e32 v1, 16, v1
	v_cmp_lt_u64_e64 s0, s[10:11], 2
	v_mad_u64_u32 v[5:6], null, s6, 3, v[1:2]
	v_mov_b32_e32 v6, v9
	v_mov_b32_e32 v1, v7
	;; [unrolled: 1-line block ×3, first 2 shown]
	s_and_b32 vcc_lo, exec_lo, s0
	v_mov_b32_e32 v3, v5
	v_mov_b32_e32 v4, v6
	s_cbranch_vccnz .LBB0_8
; %bb.1:
	s_load_dwordx2 s[0:1], s[4:5], 0x10
	v_mov_b32_e32 v7, 0
	v_mov_b32_e32 v8, 0
	s_add_u32 s6, s18, 8
	v_mov_b32_e32 v12, v6
	s_addc_u32 s7, s19, 0
	v_mov_b32_e32 v1, v7
	v_mov_b32_e32 v11, v5
	s_add_u32 s22, s16, 8
	v_mov_b32_e32 v2, v8
	s_addc_u32 s23, s17, 0
	s_mov_b64 s[26:27], 1
	s_waitcnt lgkmcnt(0)
	s_add_u32 s24, s0, 8
	s_addc_u32 s25, s1, 0
.LBB0_2:                                ; =>This Inner Loop Header: Depth=1
	s_load_dwordx2 s[28:29], s[24:25], 0x0
                                        ; implicit-def: $vgpr3_vgpr4
	s_mov_b32 s0, exec_lo
	s_waitcnt lgkmcnt(0)
	v_or_b32_e32 v10, s29, v12
	v_cmpx_ne_u64_e32 0, v[9:10]
	s_xor_b32 s1, exec_lo, s0
	s_cbranch_execz .LBB0_4
; %bb.3:                                ;   in Loop: Header=BB0_2 Depth=1
	v_cvt_f32_u32_e32 v3, s28
	v_cvt_f32_u32_e32 v4, s29
	s_sub_u32 s0, 0, s28
	s_subb_u32 s30, 0, s29
	v_fmac_f32_e32 v3, 0x4f800000, v4
	v_rcp_f32_e32 v3, v3
	v_mul_f32_e32 v3, 0x5f7ffffc, v3
	v_mul_f32_e32 v4, 0x2f800000, v3
	v_trunc_f32_e32 v4, v4
	v_fmac_f32_e32 v3, 0xcf800000, v4
	v_cvt_u32_f32_e32 v4, v4
	v_cvt_u32_f32_e32 v3, v3
	v_mul_lo_u32 v6, s0, v4
	v_mul_hi_u32 v10, s0, v3
	v_mul_lo_u32 v13, s30, v3
	v_add_nc_u32_e32 v6, v10, v6
	v_mul_lo_u32 v10, s0, v3
	v_add_nc_u32_e32 v6, v6, v13
	v_mul_hi_u32 v13, v3, v10
	v_mul_lo_u32 v14, v3, v6
	v_mul_hi_u32 v15, v3, v6
	v_mul_hi_u32 v16, v4, v10
	v_mul_lo_u32 v10, v4, v10
	v_mul_hi_u32 v17, v4, v6
	v_mul_lo_u32 v6, v4, v6
	v_add_co_u32 v13, vcc_lo, v13, v14
	v_add_co_ci_u32_e32 v14, vcc_lo, 0, v15, vcc_lo
	v_add_co_u32 v10, vcc_lo, v13, v10
	v_add_co_ci_u32_e32 v10, vcc_lo, v14, v16, vcc_lo
	v_add_co_ci_u32_e32 v13, vcc_lo, 0, v17, vcc_lo
	v_add_co_u32 v6, vcc_lo, v10, v6
	v_add_co_ci_u32_e32 v10, vcc_lo, 0, v13, vcc_lo
	v_add_co_u32 v3, vcc_lo, v3, v6
	v_add_co_ci_u32_e32 v4, vcc_lo, v4, v10, vcc_lo
	v_mul_hi_u32 v6, s0, v3
	v_mul_lo_u32 v13, s30, v3
	v_mul_lo_u32 v10, s0, v4
	v_add_nc_u32_e32 v6, v6, v10
	v_mul_lo_u32 v10, s0, v3
	v_add_nc_u32_e32 v6, v6, v13
	v_mul_hi_u32 v13, v3, v10
	v_mul_lo_u32 v14, v3, v6
	v_mul_hi_u32 v15, v3, v6
	v_mul_hi_u32 v16, v4, v10
	v_mul_lo_u32 v10, v4, v10
	v_mul_hi_u32 v17, v4, v6
	v_mul_lo_u32 v6, v4, v6
	v_add_co_u32 v13, vcc_lo, v13, v14
	v_add_co_ci_u32_e32 v14, vcc_lo, 0, v15, vcc_lo
	v_add_co_u32 v10, vcc_lo, v13, v10
	v_add_co_ci_u32_e32 v10, vcc_lo, v14, v16, vcc_lo
	v_add_co_ci_u32_e32 v13, vcc_lo, 0, v17, vcc_lo
	v_add_co_u32 v6, vcc_lo, v10, v6
	v_add_co_ci_u32_e32 v10, vcc_lo, 0, v13, vcc_lo
	v_add_co_u32 v6, vcc_lo, v3, v6
	v_add_co_ci_u32_e32 v10, vcc_lo, v4, v10, vcc_lo
	v_mul_hi_u32 v17, v11, v6
	v_mad_u64_u32 v[13:14], null, v12, v6, 0
	v_mad_u64_u32 v[3:4], null, v11, v10, 0
	v_mad_u64_u32 v[15:16], null, v12, v10, 0
	v_add_co_u32 v3, vcc_lo, v17, v3
	v_add_co_ci_u32_e32 v4, vcc_lo, 0, v4, vcc_lo
	v_add_co_u32 v3, vcc_lo, v3, v13
	v_add_co_ci_u32_e32 v3, vcc_lo, v4, v14, vcc_lo
	v_add_co_ci_u32_e32 v4, vcc_lo, 0, v16, vcc_lo
	v_add_co_u32 v6, vcc_lo, v3, v15
	v_add_co_ci_u32_e32 v10, vcc_lo, 0, v4, vcc_lo
	v_mul_lo_u32 v13, s29, v6
	v_mad_u64_u32 v[3:4], null, s28, v6, 0
	v_mul_lo_u32 v14, s28, v10
	v_sub_co_u32 v3, vcc_lo, v11, v3
	v_add3_u32 v4, v4, v14, v13
	v_sub_nc_u32_e32 v13, v12, v4
	v_subrev_co_ci_u32_e64 v13, s0, s29, v13, vcc_lo
	v_add_co_u32 v14, s0, v6, 2
	v_add_co_ci_u32_e64 v15, s0, 0, v10, s0
	v_sub_co_u32 v16, s0, v3, s28
	v_sub_co_ci_u32_e32 v4, vcc_lo, v12, v4, vcc_lo
	v_subrev_co_ci_u32_e64 v13, s0, 0, v13, s0
	v_cmp_le_u32_e32 vcc_lo, s28, v16
	v_cmp_eq_u32_e64 s0, s29, v4
	v_cndmask_b32_e64 v16, 0, -1, vcc_lo
	v_cmp_le_u32_e32 vcc_lo, s29, v13
	v_cndmask_b32_e64 v17, 0, -1, vcc_lo
	v_cmp_le_u32_e32 vcc_lo, s28, v3
	;; [unrolled: 2-line block ×3, first 2 shown]
	v_cndmask_b32_e64 v18, 0, -1, vcc_lo
	v_cmp_eq_u32_e32 vcc_lo, s29, v13
	v_cndmask_b32_e64 v3, v18, v3, s0
	v_cndmask_b32_e32 v13, v17, v16, vcc_lo
	v_add_co_u32 v16, vcc_lo, v6, 1
	v_add_co_ci_u32_e32 v17, vcc_lo, 0, v10, vcc_lo
	v_cmp_ne_u32_e32 vcc_lo, 0, v13
	v_cndmask_b32_e32 v4, v17, v15, vcc_lo
	v_cndmask_b32_e32 v13, v16, v14, vcc_lo
	v_cmp_ne_u32_e32 vcc_lo, 0, v3
	v_cndmask_b32_e32 v4, v10, v4, vcc_lo
	v_cndmask_b32_e32 v3, v6, v13, vcc_lo
.LBB0_4:                                ;   in Loop: Header=BB0_2 Depth=1
	s_andn2_saveexec_b32 s0, s1
	s_cbranch_execz .LBB0_6
; %bb.5:                                ;   in Loop: Header=BB0_2 Depth=1
	v_cvt_f32_u32_e32 v3, s28
	s_sub_i32 s1, 0, s28
	v_rcp_iflag_f32_e32 v3, v3
	v_mul_f32_e32 v3, 0x4f7ffffe, v3
	v_cvt_u32_f32_e32 v3, v3
	v_mul_lo_u32 v4, s1, v3
	v_mul_hi_u32 v4, v3, v4
	v_add_nc_u32_e32 v3, v3, v4
	v_mul_hi_u32 v3, v11, v3
	v_mul_lo_u32 v4, v3, s28
	v_add_nc_u32_e32 v6, 1, v3
	v_sub_nc_u32_e32 v4, v11, v4
	v_subrev_nc_u32_e32 v10, s28, v4
	v_cmp_le_u32_e32 vcc_lo, s28, v4
	v_cndmask_b32_e32 v4, v4, v10, vcc_lo
	v_cndmask_b32_e32 v3, v3, v6, vcc_lo
	v_cmp_le_u32_e32 vcc_lo, s28, v4
	v_add_nc_u32_e32 v6, 1, v3
	v_mov_b32_e32 v4, v9
	v_cndmask_b32_e32 v3, v3, v6, vcc_lo
.LBB0_6:                                ;   in Loop: Header=BB0_2 Depth=1
	s_or_b32 exec_lo, exec_lo, s0
	v_mul_lo_u32 v6, v4, s28
	v_mul_lo_u32 v10, v3, s29
	s_load_dwordx2 s[0:1], s[22:23], 0x0
	v_mad_u64_u32 v[13:14], null, v3, s28, 0
	s_load_dwordx2 s[28:29], s[6:7], 0x0
	s_add_u32 s26, s26, 1
	s_addc_u32 s27, s27, 0
	s_add_u32 s6, s6, 8
	s_addc_u32 s7, s7, 0
	s_add_u32 s22, s22, 8
	v_add3_u32 v6, v14, v10, v6
	v_sub_co_u32 v10, vcc_lo, v11, v13
	s_addc_u32 s23, s23, 0
	s_add_u32 s24, s24, 8
	v_sub_co_ci_u32_e32 v6, vcc_lo, v12, v6, vcc_lo
	s_addc_u32 s25, s25, 0
	s_waitcnt lgkmcnt(0)
	v_mul_lo_u32 v11, s0, v6
	v_mul_lo_u32 v12, s1, v10
	v_mad_u64_u32 v[7:8], null, s0, v10, v[7:8]
	v_mul_lo_u32 v6, s28, v6
	v_mul_lo_u32 v13, s29, v10
	v_mad_u64_u32 v[1:2], null, s28, v10, v[1:2]
	v_cmp_ge_u64_e64 s0, s[26:27], s[10:11]
	v_add3_u32 v8, v12, v8, v11
	v_add3_u32 v2, v13, v2, v6
	s_and_b32 vcc_lo, exec_lo, s0
	s_cbranch_vccnz .LBB0_8
; %bb.7:                                ;   in Loop: Header=BB0_2 Depth=1
	v_mov_b32_e32 v12, v4
	v_mov_b32_e32 v11, v3
	s_branch .LBB0_2
.LBB0_8:
	s_load_dwordx2 s[0:1], s[4:5], 0x28
	v_mul_hi_u32 v6, 0x3483484, v0
	s_lshl_b64 s[6:7], s[10:11], 3
	v_mov_b32_e32 v18, 0
	v_mov_b32_e32 v32, 0
	s_add_u32 s4, s18, s6
	s_addc_u32 s5, s19, s7
                                        ; implicit-def: $vgpr23
                                        ; implicit-def: $vgpr27
                                        ; implicit-def: $vgpr22
                                        ; implicit-def: $vgpr28
                                        ; implicit-def: $vgpr21
                                        ; implicit-def: $vgpr25
                                        ; implicit-def: $vgpr20
                                        ; implicit-def: $vgpr26
                                        ; implicit-def: $vgpr19
                                        ; implicit-def: $vgpr24
                                        ; implicit-def: $vgpr16
                                        ; implicit-def: $vgpr9
                                        ; implicit-def: $vgpr10
                                        ; implicit-def: $vgpr34
                                        ; implicit-def: $vgpr12
                                        ; implicit-def: $vgpr33
                                        ; implicit-def: $vgpr13
                                        ; implicit-def: $vgpr31
                                        ; implicit-def: $vgpr14
                                        ; implicit-def: $vgpr30
                                        ; implicit-def: $vgpr15
                                        ; implicit-def: $vgpr29
                                        ; implicit-def: $vgpr17
                                        ; implicit-def: $vgpr11
	v_mul_u32_u24_e32 v6, 0x4e, v6
	v_sub_nc_u32_e32 v0, v0, v6
	s_waitcnt lgkmcnt(0)
	v_cmp_gt_u64_e32 vcc_lo, s[0:1], v[3:4]
	v_cmp_gt_u32_e64 s0, 0x42, v0
	s_and_b32 s1, vcc_lo, s0
	s_and_saveexec_b32 s10, s1
	s_cbranch_execz .LBB0_10
; %bb.9:
	s_add_u32 s6, s16, s6
	s_addc_u32 s7, s17, s7
	v_mad_u64_u32 v[9:10], null, s20, v0, 0
	s_load_dwordx2 s[6:7], s[6:7], 0x0
	v_add_nc_u32_e32 v22, 0x42, v0
	v_add_nc_u32_e32 v24, 0x84, v0
	v_lshlrev_b64 v[6:7], 2, v[7:8]
	v_add_nc_u32_e32 v25, 0xc6, v0
	v_add_nc_u32_e32 v26, 0x108, v0
	v_mad_u64_u32 v[11:12], null, s20, v22, 0
	v_mad_u64_u32 v[13:14], null, s20, v24, 0
	v_mov_b32_e32 v8, v10
	v_mad_u64_u32 v[15:16], null, s20, v25, 0
	v_add_nc_u32_e32 v27, 0x1ce, v0
	v_add_nc_u32_e32 v43, 0x318, v0
	v_mad_u64_u32 v[19:20], null, s21, v0, v[8:9]
	v_mov_b32_e32 v8, v12
	v_mov_b32_e32 v12, v14
	;; [unrolled: 1-line block ×3, first 2 shown]
	s_waitcnt lgkmcnt(0)
	v_mul_lo_u32 v10, s7, v3
	v_mul_lo_u32 v23, s6, v4
	v_mad_u64_u32 v[17:18], null, s6, v3, 0
	v_mad_u64_u32 v[20:21], null, s20, v26, 0
	;; [unrolled: 1-line block ×3, first 2 shown]
	v_add3_u32 v18, v18, v23, v10
	v_mad_u64_u32 v[22:23], null, s21, v22, v[8:9]
	v_mad_u64_u32 v[23:24], null, s21, v24, v[12:13]
	v_lshlrev_b64 v[16:17], 2, v[17:18]
	v_mov_b32_e32 v10, v19
	v_mad_u64_u32 v[18:19], null, s21, v25, v[14:15]
	v_mov_b32_e32 v12, v22
	v_add_nc_u32_e32 v19, 0x14a, v0
	v_lshlrev_b64 v[8:9], 2, v[9:10]
	v_add_co_u32 v10, s1, s12, v16
	v_add_co_ci_u32_e64 v16, s1, s13, v17, s1
	v_mov_b32_e32 v14, v23
	v_add_co_u32 v41, s1, v10, v6
	v_add_co_ci_u32_e64 v42, s1, v16, v7, s1
	v_lshlrev_b64 v[6:7], 2, v[11:12]
	v_lshlrev_b64 v[11:12], 2, v[13:14]
	v_mov_b32_e32 v10, v21
	v_add_co_u32 v8, s1, v41, v8
	v_mov_b32_e32 v16, v18
	v_mad_u64_u32 v[17:18], null, s20, v19, 0
	v_add_co_ci_u32_e64 v9, s1, v42, v9, s1
	v_add_co_u32 v6, s1, v41, v6
	v_mad_u64_u32 v[13:14], null, s21, v26, v[10:11]
	v_add_nc_u32_e32 v26, 0x18c, v0
	v_add_co_ci_u32_e64 v7, s1, v42, v7, s1
	v_add_co_u32 v10, s1, v41, v11
	v_add_co_ci_u32_e64 v11, s1, v42, v12, s1
	v_lshlrev_b64 v[14:15], 2, v[15:16]
	v_mov_b32_e32 v12, v18
	v_mad_u64_u32 v[22:23], null, s20, v26, 0
	v_mad_u64_u32 v[24:25], null, s20, v27, 0
	v_mov_b32_e32 v21, v13
	v_mad_u64_u32 v[12:13], null, s21, v19, v[12:13]
	v_add_co_u32 v13, s1, v41, v14
	v_add_co_ci_u32_e64 v14, s1, v42, v15, s1
	v_mov_b32_e32 v15, v23
	v_mov_b32_e32 v16, v25
	;; [unrolled: 1-line block ×3, first 2 shown]
	v_lshlrev_b64 v[19:20], 2, v[20:21]
	v_mad_u64_u32 v[25:26], null, s21, v26, v[15:16]
	v_add_nc_u32_e32 v26, 0x210, v0
	v_mad_u64_u32 v[15:16], null, s21, v27, v[16:17]
	v_add_nc_u32_e32 v27, 0x252, v0
	v_lshlrev_b64 v[16:17], 2, v[17:18]
	v_mad_u64_u32 v[29:30], null, s20, v26, 0
	v_add_co_u32 v19, s1, v41, v19
	v_mad_u64_u32 v[33:34], null, s20, v27, 0
	v_mov_b32_e32 v23, v25
	v_mov_b32_e32 v25, v15
	v_add_co_ci_u32_e64 v20, s1, v42, v20, s1
	v_mov_b32_e32 v12, v30
	v_add_co_u32 v15, s1, v41, v16
	v_add_co_ci_u32_e64 v16, s1, v42, v17, s1
	v_lshlrev_b64 v[17:18], 2, v[22:23]
	v_lshlrev_b64 v[21:22], 2, v[24:25]
	v_add_nc_u32_e32 v25, 0x294, v0
	v_mad_u64_u32 v[23:24], null, s21, v26, v[12:13]
	v_mov_b32_e32 v12, v34
	v_add_co_u32 v17, s1, v41, v17
	v_mad_u64_u32 v[35:36], null, s20, v25, 0
	v_mad_u64_u32 v[31:32], null, s21, v27, v[12:13]
	v_add_nc_u32_e32 v12, 0x2d6, v0
	v_mov_b32_e32 v30, v23
	v_add_co_ci_u32_e64 v18, s1, v42, v18, s1
	v_mov_b32_e32 v23, v36
	v_mad_u64_u32 v[37:38], null, s20, v12, 0
	v_add_co_u32 v21, s1, v41, v21
	v_mad_u64_u32 v[23:24], null, s21, v25, v[23:24]
	v_add_co_ci_u32_e64 v22, s1, v42, v22, s1
	s_clause 0x7
	global_load_dword v32, v[8:9], off
	global_load_dword v27, v[6:7], off
	;; [unrolled: 1-line block ×8, first 2 shown]
	v_lshlrev_b64 v[7:8], 2, v[29:30]
	v_mov_b32_e32 v6, v38
	v_mov_b32_e32 v34, v31
	;; [unrolled: 1-line block ×3, first 2 shown]
	v_mad_u64_u32 v[12:13], null, s21, v12, v[6:7]
	v_mov_b32_e32 v6, v40
	v_add_co_u32 v7, s1, v41, v7
	v_lshlrev_b64 v[13:14], 2, v[33:34]
	v_add_co_ci_u32_e64 v8, s1, v42, v8, s1
	v_mad_u64_u32 v[15:16], null, s21, v43, v[6:7]
	v_lshlrev_b64 v[16:17], 2, v[35:36]
	v_mov_b32_e32 v38, v12
	v_add_co_u32 v12, s1, v41, v13
	v_add_co_ci_u32_e64 v13, s1, v42, v14, s1
	v_mov_b32_e32 v40, v15
	v_lshlrev_b64 v[18:19], 2, v[37:38]
	v_add_co_u32 v14, s1, v41, v16
	v_add_co_ci_u32_e64 v15, s1, v42, v17, s1
	v_lshlrev_b64 v[16:17], 2, v[39:40]
	v_add_co_u32 v18, s1, v41, v18
	v_add_co_ci_u32_e64 v19, s1, v42, v19, s1
	v_add_co_u32 v16, s1, v41, v16
	v_add_co_ci_u32_e64 v17, s1, v42, v17, s1
	s_clause 0x4
	global_load_dword v29, v[7:8], off
	global_load_dword v30, v[12:13], off
	;; [unrolled: 1-line block ×5, first 2 shown]
	s_waitcnt vmcnt(12)
	v_lshrrev_b32_e32 v18, 16, v32
	s_waitcnt vmcnt(11)
	v_lshrrev_b32_e32 v23, 16, v27
	;; [unrolled: 2-line block ×13, first 2 shown]
.LBB0_10:
	s_or_b32 exec_lo, exec_lo, s10
	v_sub_f16_e32 v46, v23, v10
	v_add_f16_e32 v8, v27, v34
	v_sub_f16_e32 v47, v22, v12
	v_add_f16_e32 v36, v28, v33
	v_sub_f16_e32 v48, v21, v13
	v_mul_f16_e32 v44, 0xba95, v46
	v_mul_hi_u32 v6, 0xaaaaaaab, v5
	v_mul_f16_e32 v43, 0xbb7b, v47
	v_add_f16_e32 v7, v25, v31
	v_sub_f16_e32 v49, v20, v14
	v_fma_f16 v37, v8, 0x388b, -v44
	v_mul_f16_e32 v42, 0xb3a8, v48
	v_fma_f16 v38, v36, 0xb5ac, -v43
	v_add_f16_e32 v35, v26, v30
	v_sub_f16_e32 v50, v19, v15
	v_add_f16_e32 v40, v32, v37
	v_mul_f16_e32 v39, 0x394e, v49
	v_fma_f16 v51, v7, 0xbbc4, -v42
	v_lshrrev_b32_e32 v6, 1, v6
	v_add_f16_e32 v37, v24, v29
	v_add_f16_e32 v38, v40, v38
	v_sub_f16_e32 v45, v16, v17
	v_mul_f16_e32 v41, 0x3bf1, v50
	v_fma_f16 v52, v35, 0xb9fd, -v39
	v_lshl_add_u32 v6, v6, 1, v6
	v_add_f16_e32 v51, v38, v51
	v_add_f16_e32 v38, v9, v11
	v_mul_f16_e32 v40, 0x3770, v45
	v_fma_f16 v53, v37, 0x2fb7, -v41
	v_sub_nc_u32_e32 v5, v5, v6
	v_add_f16_e32 v51, v51, v52
	v_fma_f16 v6, v38, 0x3b15, -v40
	v_mul_u32_u24_e32 v52, 0x35a, v5
	v_add_f16_e32 v51, v51, v53
	v_add_f16_e32 v5, v51, v6
	v_lshlrev_b32_e32 v6, 1, v52
	s_and_saveexec_b32 s1, s0
	s_cbranch_execz .LBB0_12
; %bb.11:
	v_mul_f16_e32 v51, 0x388b, v8
	v_mul_f16_e32 v63, 0xb770, v46
	;; [unrolled: 1-line block ×4, first 2 shown]
	v_pk_mul_f16 v59, 0x37703bf1, v47 op_sel_hi:[1,0]
	v_pk_mul_f16 v65, 0x394eb3a8, v47 op_sel_hi:[1,0]
	v_fma_f16 v66, v8, 0x3b15, -v63
	v_mul_f16_e32 v47, 0xba95, v47
	v_mul_f16_e32 v73, 0x388b, v36
	v_perm_b32 v44, v44, v63, 0x5040100
	v_perm_b32 v51, v51, v72, 0x5040100
	v_mul_f16_e32 v53, 0xbbc4, v7
	v_pk_mul_f16 v58, 0xb3a8b94e, v46 op_sel_hi:[1,0]
	v_pk_mul_f16 v60, 0xb94eba95, v48 op_sel_hi:[1,0]
	;; [unrolled: 1-line block ×4, first 2 shown]
	v_add_f16_e32 v66, v32, v66
	v_fma_f16 v69, v36, 0x388b, -v47
	v_mul_f16_e32 v48, 0xbbf1, v48
	v_mul_f16_e32 v74, 0x2fb7, v7
	v_pk_add_f16 v44, v44, v51
	v_perm_b32 v43, v43, v47, 0x5040100
	v_perm_b32 v47, v52, v73, 0x5040100
	v_add_f16_e32 v55, v32, v27
	v_mul_f16_e32 v54, 0xb9fd, v35
	v_pk_mul_f16 v61, 0x3a9533a8, v49 op_sel_hi:[1,0]
	v_pk_mul_f16 v68, 0xbbf13770, v49 op_sel_hi:[1,0]
	v_add_f16_e32 v66, v66, v69
	v_fma_f16 v69, v7, 0x2fb7, -v48
	v_mul_f16_e32 v49, 0xbb7b, v49
	v_mul_f16_e32 v75, 0xb5ac, v35
	v_pk_add_f16 v44, v32, v44 op_sel_hi:[0,1]
	v_pk_add_f16 v43, v43, v47
	v_perm_b32 v42, v42, v48, 0x5040100
	v_perm_b32 v47, v53, v74, 0x5040100
	v_pk_fma_f16 v48, 0xb5ac2fb7, v8, v46 op_sel_hi:[1,0,1]
	v_add_f16_e32 v55, v55, v28
	v_mul_f16_e32 v56, 0x2fb7, v37
	v_pk_mul_f16 v62, 0xbb7b3770, v50 op_sel_hi:[1,0]
	v_pk_mul_f16 v70, 0x33a8ba95, v50 op_sel_hi:[1,0]
	v_mul_f16_e32 v50, 0xb94e, v50
	v_mul_f16_e32 v63, 0xb9fd, v37
	v_pk_add_f16 v43, v44, v43
	v_pk_add_f16 v42, v42, v47
	v_pk_add_f16 v44, v32, v48 op_sel_hi:[0,1]
	v_pk_fma_f16 v47, 0xb9fdbbc4, v36, v65 op_sel_hi:[1,0,1]
	v_perm_b32 v39, v39, v49, 0x5040100
	v_perm_b32 v48, v54, v75, 0x5040100
	v_add_f16_e32 v55, v55, v25
	v_pk_add_f16 v42, v43, v42
	v_pk_add_f16 v43, v44, v47
	v_pk_fma_f16 v44, 0x3b15b5ac, v7, v67 op_sel_hi:[1,0,1]
	v_pk_add_f16 v39, v39, v48
	v_perm_b32 v41, v41, v50, 0x5040100
	v_perm_b32 v47, v56, v63, 0x5040100
	v_mul_f16_e32 v57, 0x3b15, v38
	v_pk_mul_f16 v64, 0x3bf1bb7b, v45 op_sel_hi:[1,0]
	v_pk_mul_f16 v71, 0x3a95b94e, v45 op_sel_hi:[1,0]
	v_mul_f16_e32 v45, 0xb3a8, v45
	v_mul_f16_e32 v51, 0xbbc4, v38
	v_add_f16_e32 v55, v55, v26
	v_pk_add_f16 v43, v43, v44
	v_pk_fma_f16 v44, 0x2fb73b15, v35, v68 op_sel_hi:[1,0,1]
	v_pk_add_f16 v39, v42, v39
	v_pk_add_f16 v41, v41, v47
	v_perm_b32 v40, v40, v45, 0x5040100
	v_perm_b32 v42, v57, v51, 0x5040100
	v_add_f16_e32 v55, v55, v24
	v_pk_add_f16 v43, v43, v44
	v_pk_fma_f16 v44, 0xbbc4388b, v37, v70 op_sel_hi:[1,0,1]
	v_pk_add_f16 v39, v39, v41
	v_pk_fma_f16 v41, 0xbbc4b9fd, v8, v58 op_sel_hi:[1,0,1] neg_lo:[0,0,1] neg_hi:[0,0,1]
	v_pk_add_f16 v40, v40, v42
	v_pk_fma_f16 v42, 0xb5ac2fb7, v8, v46 op_sel_hi:[1,0,1] neg_lo:[0,0,1] neg_hi:[0,0,1]
	v_add_f16_e32 v55, v55, v9
	v_pk_add_f16 v43, v43, v44
	v_pk_fma_f16 v8, 0xbbc4b9fd, v8, v58 op_sel_hi:[1,0,1]
	v_pk_add_f16 v41, v32, v41 op_sel_hi:[0,1]
	v_pk_fma_f16 v44, 0x3b152fb7, v36, v59 op_sel_hi:[1,0,1] neg_lo:[0,0,1] neg_hi:[0,0,1]
	v_fma_f16 v52, v38, 0xbbc4, -v45
	v_pk_add_f16 v42, v32, v42 op_sel_hi:[0,1]
	v_pk_fma_f16 v45, 0xb9fdbbc4, v36, v65 op_sel_hi:[1,0,1] neg_lo:[0,0,1] neg_hi:[0,0,1]
	v_add_f16_e32 v55, v55, v11
	v_pk_add_f16 v8, v32, v8 op_sel_hi:[0,1]
	v_pk_fma_f16 v32, 0x3b152fb7, v36, v59 op_sel_hi:[1,0,1]
	v_pk_add_f16 v36, v41, v44
	v_pk_fma_f16 v41, 0xb9fd388b, v7, v60 op_sel_hi:[1,0,1] neg_lo:[0,0,1] neg_hi:[0,0,1]
	v_pk_add_f16 v42, v42, v45
	v_pk_fma_f16 v44, 0x3b15b5ac, v7, v67 op_sel_hi:[1,0,1] neg_lo:[0,0,1] neg_hi:[0,0,1]
	v_add_f16_e32 v55, v29, v55
	v_pk_add_f16 v8, v8, v32
	v_pk_fma_f16 v7, 0xb9fd388b, v7, v60 op_sel_hi:[1,0,1]
	v_pk_add_f16 v32, v36, v41
	v_pk_fma_f16 v36, 0x388bbbc4, v35, v61 op_sel_hi:[1,0,1] neg_lo:[0,0,1] neg_hi:[0,0,1]
	v_add_f16_e32 v66, v66, v69
	v_fma_f16 v69, v35, 0xb5ac, -v49
	v_pk_add_f16 v41, v42, v44
	v_pk_fma_f16 v42, 0x2fb73b15, v35, v68 op_sel_hi:[1,0,1] neg_lo:[0,0,1] neg_hi:[0,0,1]
	v_add_f16_e32 v55, v30, v55
	v_pk_add_f16 v7, v8, v7
	v_pk_fma_f16 v8, 0x388bbbc4, v35, v61 op_sel_hi:[1,0,1]
	v_pk_add_f16 v32, v32, v36
	v_pk_fma_f16 v35, 0xb5ac3b15, v37, v62 op_sel_hi:[1,0,1] neg_lo:[0,0,1] neg_hi:[0,0,1]
	v_add_f16_e32 v66, v66, v69
	v_fma_f16 v69, v37, 0xb9fd, -v50
	v_pk_add_f16 v36, v41, v42
	v_pk_fma_f16 v41, 0xbbc4388b, v37, v70 op_sel_hi:[1,0,1] neg_lo:[0,0,1] neg_hi:[0,0,1]
	v_add_f16_e32 v55, v31, v55
	v_pk_add_f16 v7, v7, v8
	v_pk_fma_f16 v8, 0xb5ac3b15, v37, v62 op_sel_hi:[1,0,1]
	v_pk_add_f16 v32, v32, v35
	v_pk_fma_f16 v35, 0x2fb7b5ac, v38, v64 op_sel_hi:[1,0,1] neg_lo:[0,0,1] neg_hi:[0,0,1]
	v_add_f16_e32 v66, v66, v69
	v_pk_add_f16 v36, v36, v41
	v_pk_fma_f16 v37, 0x388bb9fd, v38, v71 op_sel_hi:[1,0,1] neg_lo:[0,0,1] neg_hi:[0,0,1]
	v_add_f16_e32 v55, v33, v55
	v_mul_u32_u24_e32 v49, 26, v0
	v_pk_fma_f16 v41, 0x388bb9fd, v38, v71 op_sel_hi:[1,0,1]
	v_pk_add_f16 v7, v7, v8
	v_pk_fma_f16 v8, 0x2fb7b5ac, v38, v64 op_sel_hi:[1,0,1]
	v_pk_add_f16 v32, v32, v35
	v_add_f16_e32 v52, v66, v52
	v_pk_add_f16 v42, v36, v37
	v_add_f16_e32 v53, v34, v55
	v_add3_u32 v48, 0, v49, v6
	v_pk_add_f16 v35, v39, v40
	v_pk_add_f16 v36, v43, v41
	;; [unrolled: 1-line block ×3, first 2 shown]
	v_alignbit_b32 v38, v32, v32, 16
	v_alignbit_b32 v7, v42, v42, 16
	v_perm_b32 v8, v52, v5, 0x5040100
	ds_write_b16 v48, v53
	ds_write_b128 v48, v[35:38] offset:2
	ds_write_b64 v48, v[7:8] offset:18
.LBB0_12:
	s_or_b32 exec_lo, exec_lo, s1
	v_sub_f16_e32 v41, v27, v34
	v_add_f16_e32 v42, v23, v10
	v_sub_f16_e32 v40, v28, v33
	v_add_f16_e32 v39, v22, v12
	v_sub_f16_e32 v45, v25, v31
	v_pk_mul_f16 v35, 0xba95b770, v41 op_sel_hi:[1,0]
	v_add_f16_e32 v38, v21, v13
	v_pk_mul_f16 v36, 0xbb7bba95, v40 op_sel_hi:[1,0]
	v_sub_f16_e32 v50, v24, v29
	v_pk_mul_f16 v37, 0xb3a8bbf1, v45 op_sel_hi:[1,0]
	v_pk_fma_f16 v7, 0x388b3b15, v42, v35 op_sel_hi:[1,0,1]
	v_lshlrev_b32_e32 v24, 1, v0
	v_pk_fma_f16 v8, 0xb5ac388b, v39, v36 op_sel_hi:[1,0,1]
	v_sub_f16_e32 v51, v9, v11
	v_pk_fma_f16 v11, 0xbbc42fb7, v38, v37 op_sel_hi:[1,0,1]
	v_pk_add_f16 v7, v18, v7 op_sel_hi:[0,1]
	v_add_nc_u32_e32 v34, 0, v24
	v_add3_u32 v9, 0, v6, v24
	v_sub_f16_e32 v43, v26, v30
	s_waitcnt lgkmcnt(0)
	v_pk_add_f16 v7, v7, v8
	s_barrier
	buffer_gl0_inv
	v_add_f16_e32 v44, v20, v14
	v_pk_mul_f16 v48, 0x394ebb7b, v43 op_sel_hi:[1,0]
	v_pk_add_f16 v11, v7, v11
	v_add_nc_u32_e32 v7, v34, v6
	v_add_f16_e32 v49, v19, v15
	v_pk_mul_f16 v46, 0x3bf1b94e, v50 op_sel_hi:[1,0]
	ds_read_u16 v8, v9
	ds_read_u16 v33, v7 offset:156
	ds_read_u16 v32, v7 offset:312
	;; [unrolled: 1-line block ×10, first 2 shown]
	v_pk_fma_f16 v47, 0xb9fdb5ac, v44, v48 op_sel_hi:[1,0,1]
	v_add_f16_e32 v52, v16, v17
	v_pk_fma_f16 v53, 0x2fb7b9fd, v49, v46 op_sel_hi:[1,0,1]
	s_waitcnt lgkmcnt(0)
	s_barrier
	v_pk_add_f16 v11, v11, v47
	v_pk_mul_f16 v47, 0x3770b3a8, v51 op_sel_hi:[1,0]
	buffer_gl0_inv
	v_pk_add_f16 v11, v11, v53
	v_pk_fma_f16 v53, 0x3b15bbc4, v52, v47 op_sel_hi:[1,0,1]
	v_pk_add_f16 v11, v11, v53
	s_and_saveexec_b32 s1, s0
	s_cbranch_execz .LBB0_14
; %bb.13:
	v_add_f16_e32 v23, v18, v23
	v_pack_b32_f16 v53, v42, v42
	v_pk_mul_f16 v42, 0x388b3b15, v42 op_sel_hi:[1,0]
	v_pack_b32_f16 v41, v41, v41
	v_perm_b32 v18, v18, v18, 0x5040100
	v_add_f16_e32 v22, v23, v22
	v_pack_b32_f16 v23, v39, v39
	v_pk_mul_f16 v39, 0xb5ac388b, v39 op_sel_hi:[1,0]
	v_pk_add_f16 v35, v42, v35 neg_lo:[0,1] neg_hi:[0,1]
	v_pack_b32_f16 v40, v40, v40
	v_add_f16_e32 v21, v22, v21
	v_pk_mul_f16 v22, 0xbbc42fb7, v38 op_sel_hi:[1,0]
	v_pack_b32_f16 v54, v38, v38
	v_pk_add_f16 v35, v18, v35
	v_pack_b32_f16 v38, v45, v45
	v_add_f16_e32 v20, v21, v20
	v_pk_add_f16 v22, v22, v37 neg_lo:[0,1] neg_hi:[0,1]
	v_pk_mul_f16 v37, 0xbb7bbbf1, v41
	v_pack_b32_f16 v45, v44, v44
	v_pk_mul_f16 v44, 0xb9fdb5ac, v44 op_sel_hi:[1,0]
	v_add_f16_e32 v19, v20, v19
	v_pack_b32_f16 v21, v43, v43
	v_pk_fma_f16 v42, 0xb5ac2fb7, v53, v37 neg_lo:[0,0,1] neg_hi:[0,0,1]
	v_pack_b32_f16 v43, v49, v49
	v_pk_mul_f16 v49, 0x2fb7b9fd, v49 op_sel_hi:[1,0]
	v_add_f16_e32 v16, v19, v16
	v_pk_add_f16 v19, v39, v36 neg_lo:[0,1] neg_hi:[0,1]
	v_pk_mul_f16 v39, 0x394eb3a8, v40
	v_pk_add_f16 v36, v44, v48 neg_lo:[0,1] neg_hi:[0,1]
	v_pack_b32_f16 v50, v50, v50
	v_add_f16_e32 v16, v16, v17
	v_pk_add_f16 v19, v35, v19
	v_pk_fma_f16 v44, 0xb9fdbbc4, v23, v39 neg_lo:[0,0,1] neg_hi:[0,0,1]
	v_pk_add_f16 v35, v18, v42
	v_pack_b32_f16 v20, v52, v52
	v_add_f16_e32 v15, v15, v16
	v_pk_mul_f16 v16, 0x37703b7b, v38
	v_pk_add_f16 v19, v19, v22
	v_pk_mul_f16 v52, 0x3b15bbc4, v52 op_sel_hi:[1,0]
	v_pk_add_f16 v17, v49, v46 neg_lo:[0,1] neg_hi:[0,1]
	v_add_f16_e32 v14, v14, v15
	v_pk_mul_f16 v15, 0xbbf13770, v21
	v_pk_fma_f16 v42, 0x3b15b5ac, v54, v16 neg_lo:[0,0,1] neg_hi:[0,0,1]
	v_pk_add_f16 v22, v35, v44
	v_pk_add_f16 v19, v19, v36
	v_add_f16_e32 v13, v13, v14
	v_pk_add_f16 v14, v52, v47 neg_lo:[0,1] neg_hi:[0,1]
	v_pk_fma_f16 v35, 0x2fb73b15, v45, v15 neg_lo:[0,0,1] neg_hi:[0,0,1]
	v_pk_add_f16 v22, v22, v42
	v_pk_fma_f16 v36, 0xb5ac2fb7, v53, v37
	v_add_f16_e32 v12, v12, v13
	v_pk_mul_f16 v13, 0x33a8ba95, v50
	v_pk_add_f16 v17, v19, v17
	v_pk_add_f16 v19, v22, v35
	v_pk_add_f16 v35, v18, v36
	v_add_f16_e32 v10, v10, v12
	v_pk_fma_f16 v22, 0xbbc4388b, v43, v13 neg_lo:[0,0,1] neg_hi:[0,0,1]
	v_pk_fma_f16 v36, 0xb9fdbbc4, v23, v39
	v_pk_add_f16 v12, v17, v14
	v_pk_mul_f16 v14, 0xb3a8b94e, v41
	v_pk_fma_f16 v16, 0x3b15b5ac, v54, v16
	v_pk_add_f16 v17, v19, v22
	v_pk_add_f16 v22, v35, v36
	v_pk_mul_f16 v36, 0x37703bf1, v40
	v_pk_fma_f16 v35, 0xbbc4b9fd, v53, v14
	v_pk_fma_f16 v14, 0xbbc4b9fd, v53, v14 neg_lo:[0,0,1] neg_hi:[0,0,1]
	v_pk_mul_f16 v38, 0xb94eba95, v38
	v_pk_add_f16 v16, v22, v16
	v_pk_fma_f16 v15, 0x2fb73b15, v45, v15
	v_pk_add_f16 v22, v18, v35
	v_pk_fma_f16 v35, 0x3b152fb7, v23, v36
	v_pk_add_f16 v14, v18, v14
	v_pk_fma_f16 v18, 0x3b152fb7, v23, v36 neg_lo:[0,0,1] neg_hi:[0,0,1]
	v_pk_fma_f16 v23, 0xb9fd388b, v54, v38
	v_pk_mul_f16 v21, 0x3a9533a8, v21
	v_pk_add_f16 v22, v22, v35
	v_pack_b32_f16 v51, v51, v51
	v_pk_add_f16 v14, v14, v18
	v_pk_fma_f16 v18, 0xb9fd388b, v54, v38 neg_lo:[0,0,1] neg_hi:[0,0,1]
	v_pk_add_f16 v15, v16, v15
	v_pk_add_f16 v16, v22, v23
	v_pk_fma_f16 v22, 0x388bbbc4, v45, v21
	v_pk_mul_f16 v23, 0xbb7b3770, v50
	v_pk_add_f16 v14, v14, v18
	v_pk_fma_f16 v18, 0x388bbbc4, v45, v21 neg_lo:[0,0,1] neg_hi:[0,0,1]
	v_pk_fma_f16 v13, 0xbbc4388b, v43, v13
	v_pk_add_f16 v16, v16, v22
	v_pk_fma_f16 v21, 0xb5ac3b15, v43, v23
	v_pk_mul_f16 v22, 0x3bf1bb7b, v51
	v_pk_mul_f16 v19, 0x3a95b94e, v51
	v_pk_add_f16 v14, v14, v18
	v_pk_fma_f16 v18, 0xb5ac3b15, v43, v23 neg_lo:[0,0,1] neg_hi:[0,0,1]
	v_pk_add_f16 v13, v15, v13
	v_pk_add_f16 v15, v16, v21
	v_pk_fma_f16 v16, 0x2fb7b5ac, v20, v22
	v_pk_fma_f16 v37, 0x388bb9fd, v20, v19 neg_lo:[0,0,1] neg_hi:[0,0,1]
	v_pk_fma_f16 v19, 0x388bb9fd, v20, v19
	v_pk_add_f16 v14, v14, v18
	v_pk_fma_f16 v18, 0x2fb7b5ac, v20, v22 neg_lo:[0,0,1] neg_hi:[0,0,1]
	v_mul_u32_u24_e32 v20, 24, v0
	v_pk_add_f16 v15, v15, v16
	v_pk_add_f16 v16, v13, v19
	;; [unrolled: 1-line block ×4, first 2 shown]
	v_add3_u32 v18, v34, v20, v6
	v_alignbit_b32 v15, v15, v15, 16
	v_alignbit_b32 v16, v16, v16, 16
	;; [unrolled: 1-line block ×3, first 2 shown]
	ds_write_b16 v18, v10
	ds_write_b128 v18, v[12:15] offset:2
	ds_write_b64 v18, v[16:17] offset:18
.LBB0_14:
	s_or_b32 exec_lo, exec_lo, s1
	v_and_b32_e32 v10, 0xff, v0
	v_mov_b32_e32 v13, 10
	s_load_dwordx2 s[4:5], s[4:5], 0x0
	s_waitcnt lgkmcnt(0)
	s_barrier
	v_mul_lo_u16 v10, 0x4f, v10
	buffer_gl0_inv
	v_cmp_gt_u32_e64 s0, 0x41, v0
	v_lshrrev_b16 v10, 10, v10
	v_mul_lo_u16 v12, v10, 13
	v_and_b32_e32 v10, 0xffff, v10
	v_sub_nc_u16 v14, v0, v12
	v_mad_u32_u24 v10, 0x11e, v10, 0
	v_mul_u32_u24_sdwa v12, v14, v13 dst_sel:DWORD dst_unused:UNUSED_PAD src0_sel:BYTE_0 src1_sel:DWORD
	v_mov_b32_e32 v13, 1
	v_lshlrev_b32_e32 v12, 2, v12
	v_lshlrev_b32_sdwa v13, v13, v14 dst_sel:DWORD dst_unused:UNUSED_PAD src0_sel:DWORD src1_sel:BYTE_0
	s_clause 0x2
	global_load_dwordx4 v[15:18], v12, s[8:9]
	global_load_dwordx4 v[19:22], v12, s[8:9] offset:16
	global_load_dwordx2 v[42:43], v12, s[8:9] offset:32
	ds_read_u16 v44, v7 offset:156
	ds_read_u16 v45, v7 offset:312
	;; [unrolled: 1-line block ×4, first 2 shown]
	ds_read_u16 v12, v9
	ds_read_u16 v48, v7 offset:780
	ds_read_u16 v49, v7 offset:936
	;; [unrolled: 1-line block ×6, first 2 shown]
	v_add3_u32 v23, v10, v13, v6
	s_waitcnt vmcnt(0) lgkmcnt(0)
	s_barrier
	buffer_gl0_inv
	v_mul_f16_sdwa v39, v44, v15 dst_sel:DWORD dst_unused:UNUSED_PAD src0_sel:DWORD src1_sel:WORD_1
	v_mul_f16_sdwa v6, v33, v15 dst_sel:DWORD dst_unused:UNUSED_PAD src0_sel:DWORD src1_sel:WORD_1
	;; [unrolled: 1-line block ×5, first 2 shown]
	v_fmac_f16_e32 v39, v33, v15
	v_mul_f16_sdwa v10, v32, v16 dst_sel:DWORD dst_unused:UNUSED_PAD src0_sel:DWORD src1_sel:WORD_1
	v_mul_f16_sdwa v35, v46, v17 dst_sel:DWORD dst_unused:UNUSED_PAD src0_sel:DWORD src1_sel:WORD_1
	v_mul_f16_sdwa v54, v31, v17 dst_sel:DWORD dst_unused:UNUSED_PAD src0_sel:DWORD src1_sel:WORD_1
	v_mul_f16_sdwa v34, v47, v18 dst_sel:DWORD dst_unused:UNUSED_PAD src0_sel:DWORD src1_sel:WORD_1
	v_mul_f16_sdwa v55, v30, v18 dst_sel:DWORD dst_unused:UNUSED_PAD src0_sel:DWORD src1_sel:WORD_1
	v_mul_f16_sdwa v56, v29, v19 dst_sel:DWORD dst_unused:UNUSED_PAD src0_sel:DWORD src1_sel:WORD_1
	v_mul_f16_sdwa v14, v49, v20 dst_sel:DWORD dst_unused:UNUSED_PAD src0_sel:DWORD src1_sel:WORD_1
	v_mul_f16_sdwa v57, v28, v20 dst_sel:DWORD dst_unused:UNUSED_PAD src0_sel:DWORD src1_sel:WORD_1
	v_mul_f16_sdwa v36, v50, v21 dst_sel:DWORD dst_unused:UNUSED_PAD src0_sel:DWORD src1_sel:WORD_1
	v_mul_f16_sdwa v58, v27, v21 dst_sel:DWORD dst_unused:UNUSED_PAD src0_sel:DWORD src1_sel:WORD_1
	v_mul_f16_sdwa v59, v25, v22 dst_sel:DWORD dst_unused:UNUSED_PAD src0_sel:DWORD src1_sel:WORD_1
	v_mul_f16_sdwa v40, v52, v42 dst_sel:DWORD dst_unused:UNUSED_PAD src0_sel:DWORD src1_sel:WORD_1
	v_mul_f16_sdwa v60, v24, v42 dst_sel:DWORD dst_unused:UNUSED_PAD src0_sel:DWORD src1_sel:WORD_1
	v_mul_f16_sdwa v41, v53, v43 dst_sel:DWORD dst_unused:UNUSED_PAD src0_sel:DWORD src1_sel:WORD_1
	v_fma_f16 v33, v44, v15, -v6
	v_fmac_f16_e32 v37, v32, v16
	v_fmac_f16_e32 v38, v25, v22
	v_fma_f16 v25, v53, v43, -v61
	v_add_f16_e32 v6, v8, v39
	v_mul_f16_sdwa v13, v48, v19 dst_sel:DWORD dst_unused:UNUSED_PAD src0_sel:DWORD src1_sel:WORD_1
	v_fma_f16 v32, v45, v16, -v10
	v_fmac_f16_e32 v35, v31, v17
	v_fma_f16 v31, v46, v17, -v54
	v_fmac_f16_e32 v34, v30, v18
	v_fma_f16 v30, v47, v18, -v55
	v_fma_f16 v15, v48, v19, -v56
	v_fmac_f16_e32 v14, v28, v20
	v_fma_f16 v16, v49, v20, -v57
	v_fmac_f16_e32 v36, v27, v21
	v_fma_f16 v28, v50, v21, -v58
	v_fma_f16 v27, v51, v22, -v59
	v_fmac_f16_e32 v41, v26, v43
	v_fmac_f16_e32 v40, v24, v42
	v_fma_f16 v24, v52, v42, -v60
	v_sub_f16_e32 v17, v33, v25
	v_add_f16_e32 v6, v6, v37
	v_fmac_f16_e32 v13, v29, v19
	v_add_f16_e32 v10, v39, v41
	v_sub_f16_e32 v19, v32, v24
	v_sub_f16_e32 v21, v31, v27
	;; [unrolled: 1-line block ×4, first 2 shown]
	v_mul_f16_e32 v43, 0xba0c, v17
	v_pk_mul_f16 v47, 0xbbebbb47, v17 op_sel_hi:[1,0]
	v_pk_mul_f16 v17, 0xb853b482, v17 op_sel_hi:[1,0]
	v_add_f16_e32 v6, v6, v35
	v_add_f16_e32 v18, v37, v40
	;; [unrolled: 1-line block ×5, first 2 shown]
	v_mul_f16_e32 v44, 0x3beb, v19
	v_mul_f16_e32 v45, 0xb853, v21
	;; [unrolled: 1-line block ×3, first 2 shown]
	v_pk_mul_f16 v48, 0x3482ba0c, v19 op_sel_hi:[1,0]
	v_pk_mul_f16 v49, 0x3b473482, v21 op_sel_hi:[1,0]
	;; [unrolled: 1-line block ×4, first 2 shown]
	v_mul_f16_e32 v52, 0x3b47, v42
	v_pk_mul_f16 v19, 0xbb473853, v19 op_sel_hi:[1,0]
	v_pk_mul_f16 v21, 0xbbebba0c, v21 op_sel_hi:[1,0]
	;; [unrolled: 1-line block ×4, first 2 shown]
	v_fmamk_f16 v53, v10, 0xb93d, v43
	v_fma_f16 v43, v10, 0xb93d, -v43
	v_pk_fma_f16 v57, 0xb08e36a6, v10, v47 op_sel_hi:[1,0,1]
	v_pk_fma_f16 v47, 0xb08e36a6, v10, v47 op_sel_hi:[1,0,1] neg_lo:[0,0,1] neg_hi:[0,0,1]
	v_pk_fma_f16 v63, 0x3abbbbad, v10, v17 op_sel_hi:[1,0,1]
	v_pk_fma_f16 v10, 0x3abbbbad, v10, v17 op_sel_hi:[1,0,1] neg_lo:[0,0,1] neg_hi:[0,0,1]
	v_add_f16_e32 v6, v6, v34
	v_fmamk_f16 v54, v18, 0xb08e, v44
	v_fma_f16 v44, v18, 0xb08e, -v44
	v_fmamk_f16 v55, v20, 0x3abb, v45
	v_fma_f16 v45, v20, 0x3abb, -v45
	v_fmamk_f16 v56, v22, 0xbbad, v46
	v_fma_f16 v46, v22, 0xbbad, -v46
	v_pk_fma_f16 v58, 0xbbadb93d, v18, v48 op_sel_hi:[1,0,1]
	v_pk_fma_f16 v48, 0xbbadb93d, v18, v48 op_sel_hi:[1,0,1] neg_lo:[0,0,1] neg_hi:[0,0,1]
	v_pk_fma_f16 v59, 0x36a6bbad, v20, v49 op_sel_hi:[1,0,1]
	v_pk_fma_f16 v49, 0x36a6bbad, v20, v49 op_sel_hi:[1,0,1] neg_lo:[0,0,1] neg_hi:[0,0,1]
	;; [unrolled: 2-line block ×4, first 2 shown]
	v_fmamk_f16 v62, v29, 0x36a6, v52
	v_fma_f16 v52, v29, 0x36a6, -v52
	v_pk_fma_f16 v17, 0x36a63abb, v18, v19 op_sel_hi:[1,0,1]
	v_pk_fma_f16 v18, 0x36a63abb, v18, v19 op_sel_hi:[1,0,1] neg_lo:[0,0,1] neg_hi:[0,0,1]
	v_pk_fma_f16 v19, 0xb08eb93d, v20, v21 op_sel_hi:[1,0,1]
	v_pk_fma_f16 v20, 0xb08eb93d, v20, v21 op_sel_hi:[1,0,1] neg_lo:[0,0,1] neg_hi:[0,0,1]
	;; [unrolled: 2-line block ×4, first 2 shown]
	v_add_f16_e32 v42, v8, v53
	v_add_f16_e32 v43, v8, v43
	;; [unrolled: 1-line block ×3, first 2 shown]
	v_add_f16_sdwa v57, v8, v57 dst_sel:DWORD dst_unused:UNUSED_PAD src0_sel:DWORD src1_sel:WORD_1
	v_pk_add_f16 v47, v8, v47 op_sel_hi:[0,1]
	v_add_f16_sdwa v64, v8, v63 dst_sel:DWORD dst_unused:UNUSED_PAD src0_sel:DWORD src1_sel:WORD_1
	v_add_f16_e32 v63, v8, v63
	v_pk_add_f16 v8, v8, v10 op_sel_hi:[0,1]
	v_add_f16_e32 v6, v6, v13
	v_add_f16_e32 v10, v54, v42
	v_add_f16_e32 v42, v44, v43
	v_add_f16_e32 v43, v58, v53
	v_add_f16_sdwa v44, v58, v57 dst_sel:DWORD dst_unused:UNUSED_PAD src0_sel:WORD_1 src1_sel:DWORD
	v_pk_add_f16 v47, v48, v47
	v_add_f16_sdwa v48, v17, v64 dst_sel:DWORD dst_unused:UNUSED_PAD src0_sel:WORD_1 src1_sel:DWORD
	v_add_f16_e32 v17, v17, v63
	v_pk_add_f16 v8, v18, v8
	v_add_f16_e32 v6, v6, v14
	v_add_f16_e32 v10, v55, v10
	v_add_f16_e32 v18, v45, v42
	v_add_f16_e32 v42, v59, v43
	v_add_f16_sdwa v43, v59, v44 dst_sel:DWORD dst_unused:UNUSED_PAD src0_sel:WORD_1 src1_sel:DWORD
	v_pk_add_f16 v44, v49, v47
	v_add_f16_sdwa v45, v19, v48 dst_sel:DWORD dst_unused:UNUSED_PAD src0_sel:WORD_1 src1_sel:DWORD
	v_add_f16_e32 v17, v19, v17
	v_pk_add_f16 v8, v20, v8
	;; [unrolled: 9-line block ×3, first 2 shown]
	v_add_f16_e32 v22, v6, v38
	v_pk_add_f16 v8, v51, v42
	v_add_f16_e32 v42, v62, v10
	v_add_f16_sdwa v43, v26, v43 dst_sel:DWORD dst_unused:UNUSED_PAD src0_sel:WORD_1 src1_sel:DWORD
	v_add_f16_e32 v10, v52, v18
	v_add_f16_e32 v18, v22, v40
	;; [unrolled: 1-line block ×3, first 2 shown]
	v_add_f16_sdwa v20, v61, v20 dst_sel:DWORD dst_unused:UNUSED_PAD src0_sel:WORD_1 src1_sel:DWORD
	v_add_f16_e32 v17, v26, v17
	v_pk_add_f16 v6, v29, v21
	ds_write_b16 v23, v43 offset:26
	ds_write_b16 v23, v19 offset:52
	;; [unrolled: 1-line block ×6, first 2 shown]
	v_add_f16_e32 v17, v18, v41
	ds_write_b16 v23, v10 offset:182
	ds_write_b16_d16_hi v23, v8 offset:208
	ds_write_b16 v23, v8 offset:234
	ds_write_b16_d16_hi v23, v6 offset:260
	ds_write_b16 v23, v17
	s_waitcnt lgkmcnt(0)
	s_barrier
	buffer_gl0_inv
	ds_read_u16 v17, v9
	ds_read_u16 v18, v7 offset:286
	ds_read_u16 v21, v7 offset:572
	;; [unrolled: 1-line block ×5, first 2 shown]
	s_and_saveexec_b32 s1, s0
	s_cbranch_execz .LBB0_16
; %bb.15:
	ds_read_u16 v8, v7 offset:1014
	ds_read_u16 v6, v7 offset:156
	;; [unrolled: 1-line block ×3, first 2 shown]
	s_waitcnt lgkmcnt(2)
	ds_read_u16_d16_hi v8, v7 offset:728
	ds_read_u16 v5, v7 offset:1586
	s_waitcnt lgkmcnt(3)
	ds_read_u16_d16_hi v6, v7 offset:1300
.LBB0_16:
	s_or_b32 exec_lo, exec_lo, s1
	v_add_f16_e32 v26, v12, v33
	v_add_f16_e32 v29, v33, v25
	v_sub_f16_e32 v33, v39, v41
	v_add_f16_e32 v39, v32, v24
	v_sub_f16_e32 v37, v37, v40
	v_add_f16_e32 v26, v26, v32
	v_add_f16_e32 v32, v31, v27
	v_sub_f16_e32 v34, v34, v36
	v_mul_f16_e32 v36, 0xb08e, v39
	v_sub_f16_e32 v35, v35, v38
	v_add_f16_e32 v26, v26, v31
	v_mul_f16_e32 v31, 0xb93d, v29
	v_add_f16_e32 v38, v30, v28
	v_mul_f16_e32 v40, 0x3abb, v32
	v_fmamk_f16 v45, v37, 0xbbeb, v36
	v_add_f16_e32 v26, v26, v30
	v_fmamk_f16 v44, v33, 0x3a0c, v31
	v_pk_mul_f16 v30, 0xb08e36a6, v29 op_sel_hi:[1,0]
	v_fmac_f16_e32 v31, 0xba0c, v33
	v_mul_f16_e32 v41, 0xbbad, v38
	v_add_f16_e32 v26, v26, v15
	v_add_f16_e32 v44, v12, v44
	v_pk_mul_f16 v42, 0xbbadb93d, v39 op_sel_hi:[1,0]
	v_fmac_f16_e32 v36, 0x3beb, v37
	v_fmamk_f16 v46, v35, 0x3853, v40
	v_add_f16_e32 v26, v26, v16
	v_add_f16_e32 v31, v12, v31
	;; [unrolled: 1-line block ×3, first 2 shown]
	v_pk_mul_f16 v43, 0x36a6bbad, v32 op_sel_hi:[1,0]
	v_fmac_f16_e32 v40, 0xb853, v35
	v_add_f16_e32 v26, v26, v28
	v_pk_fma_f16 v28, 0xbbebbb47, v33, v30 op_sel_hi:[1,0,1] neg_lo:[0,1,0] neg_hi:[0,1,0]
	v_fmamk_f16 v47, v34, 0x3482, v41
	v_pk_fma_f16 v30, 0xbbebbb47, v33, v30 op_sel_hi:[1,0,1]
	v_add_f16_e32 v31, v36, v31
	v_add_f16_e32 v26, v26, v27
	v_pk_fma_f16 v27, 0x3482ba0c, v37, v42 op_sel_hi:[1,0,1] neg_lo:[0,1,0] neg_hi:[0,1,0]
	v_add_f16_e32 v45, v12, v28
	v_add_f16_e32 v36, v46, v44
	v_add_f16_e32 v15, v15, v16
	v_add_f16_e32 v24, v26, v24
	v_add_f16_sdwa v26, v12, v28 dst_sel:DWORD dst_unused:UNUSED_PAD src0_sel:DWORD src1_sel:WORD_1
	v_pk_add_f16 v28, v12, v30 op_sel_hi:[0,1]
	v_add_f16_e32 v30, v40, v31
	v_add_f16_e32 v31, v47, v36
	;; [unrolled: 1-line block ×4, first 2 shown]
	v_pk_fma_f16 v36, 0x3482ba0c, v37, v42 op_sel_hi:[1,0,1]
	v_pk_fma_f16 v40, 0x3b473482, v35, v43 op_sel_hi:[1,0,1] neg_lo:[0,1,0] neg_hi:[0,1,0]
	v_pk_mul_f16 v16, 0x3abbb08e, v38 op_sel_hi:[1,0]
	v_add_f16_sdwa v26, v27, v26 dst_sel:DWORD dst_unused:UNUSED_PAD src0_sel:WORD_1 src1_sel:DWORD
	v_sub_f16_e32 v14, v13, v14
	v_pk_add_f16 v27, v36, v28
	v_add_f16_e32 v25, v40, v25
	v_pk_fma_f16 v28, 0x3b473482, v35, v43 op_sel_hi:[1,0,1]
	v_pk_fma_f16 v36, 0xb8533beb, v34, v16 op_sel_hi:[1,0,1] neg_lo:[0,1,0] neg_hi:[0,1,0]
	v_pk_mul_f16 v13, 0xb93d3abb, v15 op_sel_hi:[1,0]
	v_add_f16_sdwa v26, v40, v26 dst_sel:DWORD dst_unused:UNUSED_PAD src0_sel:WORD_1 src1_sel:DWORD
	v_pk_fma_f16 v16, 0xb8533beb, v34, v16 op_sel_hi:[1,0,1]
	v_pk_add_f16 v27, v28, v27
	v_add_f16_e32 v25, v36, v25
	v_pk_fma_f16 v28, 0xba0c3853, v14, v13 op_sel_hi:[1,0,1] neg_lo:[0,1,0] neg_hi:[0,1,0]
	v_pk_mul_f16 v29, 0x3abbbbad, v29 op_sel_hi:[1,0]
	v_add_f16_sdwa v26, v36, v26 dst_sel:DWORD dst_unused:UNUSED_PAD src0_sel:WORD_1 src1_sel:DWORD
	v_pk_add_f16 v16, v16, v27
	v_pk_fma_f16 v13, 0xba0c3853, v14, v13 op_sel_hi:[1,0,1]
	v_add_f16_e32 v25, v28, v25
	v_pk_fma_f16 v27, 0xb853b482, v33, v29 op_sel_hi:[1,0,1] neg_lo:[0,1,0] neg_hi:[0,1,0]
	v_add_f16_sdwa v26, v28, v26 dst_sel:DWORD dst_unused:UNUSED_PAD src0_sel:WORD_1 src1_sel:DWORD
	v_pk_mul_f16 v28, 0x36a63abb, v39 op_sel_hi:[1,0]
	v_pk_fma_f16 v29, 0xb853b482, v33, v29 op_sel_hi:[1,0,1]
	v_pk_add_f16 v13, v13, v16
	v_add_f16_sdwa v16, v12, v27 dst_sel:DWORD dst_unused:UNUSED_PAD src0_sel:DWORD src1_sel:WORD_1
	v_add_f16_e32 v27, v12, v27
	v_pk_fma_f16 v33, 0xbb473853, v37, v28 op_sel_hi:[1,0,1] neg_lo:[0,1,0] neg_hi:[0,1,0]
	v_pk_add_f16 v12, v12, v29 op_sel_hi:[0,1]
	v_pk_mul_f16 v29, 0xb08eb93d, v32 op_sel_hi:[1,0]
	v_pk_fma_f16 v28, 0xbb473853, v37, v28 op_sel_hi:[1,0,1]
	v_mul_f16_e32 v32, 0x36a6, v15
	v_add_f16_sdwa v16, v33, v16 dst_sel:DWORD dst_unused:UNUSED_PAD src0_sel:WORD_1 src1_sel:DWORD
	v_add_f16_e32 v27, v33, v27
	v_pk_fma_f16 v33, 0xbbebba0c, v35, v29 op_sel_hi:[1,0,1] neg_lo:[0,1,0] neg_hi:[0,1,0]
	v_pk_add_f16 v12, v28, v12
	v_pk_mul_f16 v28, 0xb93d36a6, v38 op_sel_hi:[1,0]
	v_pk_fma_f16 v29, 0xbbebba0c, v35, v29 op_sel_hi:[1,0,1]
	v_pk_mul_f16 v15, 0xbbadb08e, v15 op_sel_hi:[1,0]
	v_add_f16_sdwa v16, v33, v16 dst_sel:DWORD dst_unused:UNUSED_PAD src0_sel:WORD_1 src1_sel:DWORD
	v_add_f16_e32 v27, v33, v27
	v_pk_fma_f16 v33, 0xba0c3b47, v34, v28 op_sel_hi:[1,0,1] neg_lo:[0,1,0] neg_hi:[0,1,0]
	v_pk_add_f16 v12, v29, v12
	v_pk_fma_f16 v28, 0xba0c3b47, v34, v28 op_sel_hi:[1,0,1]
	v_fmac_f16_e32 v41, 0xb482, v34
	v_pk_fma_f16 v29, 0xb482bbeb, v14, v15 op_sel_hi:[1,0,1] neg_lo:[0,1,0] neg_hi:[0,1,0]
	v_pk_fma_f16 v15, 0xb482bbeb, v14, v15 op_sel_hi:[1,0,1]
	v_add_f16_sdwa v16, v33, v16 dst_sel:DWORD dst_unused:UNUSED_PAD src0_sel:WORD_1 src1_sel:DWORD
	v_pk_add_f16 v12, v28, v12
	v_add_f16_e32 v27, v33, v27
	v_add_f16_e32 v30, v41, v30
	v_fmamk_f16 v35, v14, 0xbb47, v32
	v_fmac_f16_e32 v32, 0x3b47, v14
	v_pk_add_f16 v12, v15, v12
	v_add_f16_sdwa v16, v29, v16 dst_sel:DWORD dst_unused:UNUSED_PAD src0_sel:WORD_1 src1_sel:DWORD
	v_add_f16_e32 v27, v29, v27
	v_lshrrev_b32_e32 v15, 16, v13
	v_add_f16_e32 v14, v32, v30
	v_add_f16_e32 v28, v35, v31
	s_waitcnt lgkmcnt(0)
	s_barrier
	buffer_gl0_inv
	ds_write_b16 v23, v24
	ds_write_b16 v23, v16 offset:26
	ds_write_b16 v23, v25 offset:52
	;; [unrolled: 1-line block ×4, first 2 shown]
	v_lshrrev_b32_e32 v16, 16, v12
	ds_write_b16 v23, v27 offset:130
	ds_write_b16 v23, v12 offset:156
	;; [unrolled: 1-line block ×6, first 2 shown]
	s_waitcnt lgkmcnt(0)
	s_barrier
	buffer_gl0_inv
	ds_read_u16 v23, v9
	ds_read_u16 v24, v7 offset:286
	ds_read_u16 v27, v7 offset:572
	;; [unrolled: 1-line block ×5, first 2 shown]
	v_lshrrev_b32_e32 v9, 16, v11
	s_and_saveexec_b32 s1, s0
	s_cbranch_execz .LBB0_18
; %bb.17:
	ds_read_u16 v12, v7 offset:156
	ds_read_u16 v14, v7 offset:442
	;; [unrolled: 1-line block ×6, first 2 shown]
.LBB0_18:
	s_or_b32 exec_lo, exec_lo, s1
	s_and_saveexec_b32 s1, vcc_lo
	s_cbranch_execz .LBB0_21
; %bb.19:
	v_mul_u32_u24_e32 v7, 5, v0
	v_mad_u64_u32 v[33:34], null, s2, v0, 0
	v_add_nc_u32_e32 v47, 0x8f, v0
	v_mul_lo_u32 v11, s5, v3
	v_lshlrev_b32_e32 v7, 2, v7
	v_mul_lo_u32 v43, s4, v4
	v_mad_u64_u32 v[3:4], null, s4, v3, 0
	v_add_nc_u32_e32 v48, 0x11e, v0
	s_clause 0x1
	global_load_dwordx4 v[29:32], v7, s[8:9] offset:520
	global_load_dword v52, v7, s[8:9] offset:536
	v_add_nc_u32_e32 v49, 0x1ad, v0
	v_add_nc_u32_e32 v50, 0x23c, v0
	;; [unrolled: 1-line block ×3, first 2 shown]
	v_mad_u64_u32 v[35:36], null, s2, v47, 0
	v_mad_u64_u32 v[37:38], null, s2, v48, 0
	;; [unrolled: 1-line block ×4, first 2 shown]
	v_mov_b32_e32 v7, v34
	v_add3_u32 v4, v4, v43, v11
	v_mad_u64_u32 v[43:44], null, s2, v51, 0
	v_mov_b32_e32 v11, v38
	v_mad_u64_u32 v[45:46], null, s3, v0, v[7:8]
	v_mov_b32_e32 v7, v36
	v_mov_b32_e32 v34, v40
	;; [unrolled: 1-line block ×4, first 2 shown]
	v_lshlrev_b64 v[3:4], 2, v[3:4]
	v_mad_u64_u32 v[46:47], null, s3, v47, v[7:8]
	s_waitcnt lgkmcnt(5)
	v_mad_u64_u32 v[47:48], null, s3, v48, v[11:12]
	v_mad_u64_u32 v[48:49], null, s3, v49, v[34:35]
	;; [unrolled: 1-line block ×4, first 2 shown]
	v_lshlrev_b64 v[1:2], 2, v[1:2]
	v_add_co_u32 v3, vcc_lo, s14, v3
	v_add_co_ci_u32_e32 v4, vcc_lo, s15, v4, vcc_lo
	v_mov_b32_e32 v34, v45
	v_mov_b32_e32 v36, v46
	v_mov_b32_e32 v38, v47
	v_mov_b32_e32 v40, v48
	v_mov_b32_e32 v42, v49
	v_mov_b32_e32 v44, v50
	v_add_co_u32 v1, vcc_lo, v3, v1
	v_add_co_ci_u32_e32 v2, vcc_lo, v4, v2, vcc_lo
	v_lshlrev_b64 v[3:4], 2, v[33:34]
	v_lshlrev_b64 v[33:34], 2, v[35:36]
	;; [unrolled: 1-line block ×6, first 2 shown]
	v_add_co_u32 v3, vcc_lo, v1, v3
	v_add_co_ci_u32_e32 v4, vcc_lo, v2, v4, vcc_lo
	v_add_co_u32 v33, vcc_lo, v1, v33
	v_add_co_ci_u32_e32 v34, vcc_lo, v2, v34, vcc_lo
	;; [unrolled: 2-line block ×6, first 2 shown]
	s_waitcnt vmcnt(1)
	v_lshrrev_b32_e32 v11, 16, v31
	v_mul_f16_e32 v48, v19, v31
	s_waitcnt vmcnt(0)
	v_lshrrev_b32_e32 v49, 16, v52
	v_lshrrev_b32_e32 v7, 16, v29
	v_mul_f16_sdwa v43, v21, v30 dst_sel:DWORD dst_unused:UNUSED_PAD src0_sel:DWORD src1_sel:WORD_1
	v_mul_f16_sdwa v44, v22, v32 dst_sel:DWORD dst_unused:UNUSED_PAD src0_sel:DWORD src1_sel:WORD_1
	v_mul_f16_e32 v47, v18, v29
	v_mul_f16_e32 v50, v20, v52
	s_waitcnt lgkmcnt(2)
	v_fmac_f16_e32 v48, v25, v11
	v_mul_f16_e32 v11, v19, v11
	v_mul_f16_e32 v19, v20, v49
	v_mul_f16_sdwa v45, v27, v30 dst_sel:DWORD dst_unused:UNUSED_PAD src0_sel:DWORD src1_sel:WORD_1
	s_waitcnt lgkmcnt(1)
	v_mul_f16_sdwa v46, v28, v32 dst_sel:DWORD dst_unused:UNUSED_PAD src0_sel:DWORD src1_sel:WORD_1
	v_fma_f16 v27, v27, v30, -v43
	v_fma_f16 v28, v28, v32, -v44
	v_fmac_f16_e32 v47, v24, v7
	s_waitcnt lgkmcnt(0)
	v_fmac_f16_e32 v50, v26, v49
	v_mul_f16_e32 v7, v18, v7
	v_fma_f16 v11, v25, v31, -v11
	v_fma_f16 v19, v26, v52, -v19
	v_fmac_f16_e32 v45, v21, v30
	v_fmac_f16_e32 v46, v22, v32
	v_add_f16_e32 v18, v27, v28
	v_add_f16_e32 v21, v48, v50
	v_fma_f16 v7, v24, v29, -v7
	v_add_f16_e32 v30, v11, v19
	v_sub_f16_e32 v22, v48, v50
	v_add_f16_e32 v24, v23, v27
	v_add_f16_e32 v25, v45, v46
	v_sub_f16_e32 v26, v27, v28
	v_add_f16_e32 v27, v17, v45
	v_add_f16_e32 v29, v47, v48
	v_fma_f16 v18, -0.5, v18, v23
	v_fma_f16 v21, -0.5, v21, v47
	v_sub_f16_e32 v23, v11, v19
	v_add_f16_e32 v11, v7, v11
	v_fma_f16 v7, -0.5, v30, v7
	v_sub_f16_e32 v20, v45, v46
	v_add_f16_e32 v24, v24, v28
	v_fma_f16 v17, -0.5, v25, v17
	v_add_f16_e32 v25, v27, v46
	v_add_f16_e32 v27, v29, v50
	v_fmamk_f16 v29, v23, 0x3aee, v21
	v_fmac_f16_e32 v21, 0xbaee, v23
	v_add_f16_e32 v11, v11, v19
	v_fmamk_f16 v23, v22, 0xbaee, v7
	v_fmac_f16_e32 v7, 0x3aee, v22
	v_fmamk_f16 v28, v20, 0xbaee, v18
	v_fmac_f16_e32 v18, 0x3aee, v20
	;; [unrolled: 2-line block ×3, first 2 shown]
	v_sub_f16_e32 v20, v25, v27
	v_add_f16_e32 v22, v25, v27
	v_sub_f16_e32 v25, v24, v11
	v_add_f16_e32 v11, v24, v11
	v_mul_f16_e32 v24, -0.5, v23
	v_mul_f16_e32 v26, 0.5, v7
	v_mul_f16_e32 v7, 0xbaee, v7
	v_mul_f16_e32 v23, 0xbaee, v23
	v_pack_b32_f16 v11, v22, v11
	v_fmac_f16_e32 v24, 0x3aee, v29
	v_fmac_f16_e32 v26, 0x3aee, v21
	v_fmac_f16_e32 v7, 0.5, v21
	v_fmac_f16_e32 v23, -0.5, v29
	v_pack_b32_f16 v20, v20, v25
	v_sub_f16_e32 v21, v28, v24
	v_add_f16_e32 v22, v28, v24
	v_add_f16_e32 v24, v18, v26
	;; [unrolled: 1-line block ×4, first 2 shown]
	v_sub_f16_e32 v18, v18, v26
	v_sub_f16_e32 v7, v17, v7
	;; [unrolled: 1-line block ×3, first 2 shown]
	v_pack_b32_f16 v19, v25, v24
	v_pack_b32_f16 v22, v27, v22
	global_store_dword v[3:4], v11, off
	v_pack_b32_f16 v3, v7, v18
	v_pack_b32_f16 v4, v17, v21
	global_store_dword v[33:34], v19, off
	global_store_dword v[35:36], v22, off
	;; [unrolled: 1-line block ×5, first 2 shown]
	s_and_b32 exec_lo, exec_lo, s0
	s_cbranch_execz .LBB0_21
; %bb.20:
	v_add_nc_u32_e32 v31, 0x4e, v0
	v_add_nc_u32_e32 v3, 0xffffffbf, v0
	v_mov_b32_e32 v4, 0
	v_add_nc_u32_e32 v32, 0xdd, v0
	v_add_nc_u32_e32 v33, 0x16c, v0
	;; [unrolled: 1-line block ×3, first 2 shown]
	v_cndmask_b32_e64 v3, v3, v31, s0
	v_add_nc_u32_e32 v34, 0x1fb, v0
	v_mad_u64_u32 v[21:22], null, s2, v32, 0
	v_mad_u64_u32 v[23:24], null, s2, v33, 0
	v_mul_i32_i24_e32 v3, 5, v3
	v_mad_u64_u32 v[29:30], null, s2, v36, 0
	v_add_nc_u32_e32 v35, 0x28a, v0
	v_mad_u64_u32 v[25:26], null, s2, v34, 0
	v_lshlrev_b64 v[3:4], 2, v[3:4]
	v_mov_b32_e32 v7, v24
	v_mad_u64_u32 v[27:28], null, s2, v35, 0
	v_mov_b32_e32 v24, v30
	v_add_co_u32 v3, vcc_lo, s8, v3
	v_add_co_ci_u32_e32 v4, vcc_lo, s9, v4, vcc_lo
	s_clause 0x1
	global_load_dwordx4 v[17:20], v[3:4], off offset:520
	global_load_dword v37, v[3:4], off offset:536
	v_mad_u64_u32 v[3:4], null, s2, v31, 0
	v_mov_b32_e32 v11, v26
	v_mov_b32_e32 v0, v4
	;; [unrolled: 1-line block ×4, first 2 shown]
	v_mad_u64_u32 v[30:31], null, s3, v31, v[0:1]
	v_mad_u64_u32 v[31:32], null, s3, v32, v[4:5]
	;; [unrolled: 1-line block ×4, first 2 shown]
	v_mov_b32_e32 v4, v30
	v_mad_u64_u32 v[34:35], null, s3, v35, v[22:23]
	v_mov_b32_e32 v22, v31
	v_mad_u64_u32 v[35:36], null, s3, v36, v[24:25]
	v_lshlrev_b64 v[3:4], 2, v[3:4]
	v_mov_b32_e32 v24, v32
	v_lshlrev_b64 v[21:22], 2, v[21:22]
	v_mov_b32_e32 v26, v33
	v_mov_b32_e32 v28, v34
	v_lshrrev_b32_e32 v7, 16, v8
	v_lshlrev_b64 v[23:24], 2, v[23:24]
	v_add_co_u32 v3, vcc_lo, v1, v3
	v_add_co_ci_u32_e32 v4, vcc_lo, v2, v4, vcc_lo
	v_lshlrev_b64 v[25:26], 2, v[25:26]
	v_add_co_u32 v21, vcc_lo, v1, v21
	v_mov_b32_e32 v30, v35
	v_add_co_ci_u32_e32 v22, vcc_lo, v2, v22, vcc_lo
	v_lshlrev_b64 v[27:28], 2, v[27:28]
	v_add_co_u32 v23, vcc_lo, v1, v23
	v_add_co_ci_u32_e32 v24, vcc_lo, v2, v24, vcc_lo
	v_lshlrev_b64 v[29:30], 2, v[29:30]
	v_add_co_u32 v25, vcc_lo, v1, v25
	v_add_co_ci_u32_e32 v26, vcc_lo, v2, v26, vcc_lo
	v_add_co_u32 v27, vcc_lo, v1, v27
	v_add_co_ci_u32_e32 v28, vcc_lo, v2, v28, vcc_lo
	v_add_co_u32 v0, vcc_lo, v1, v29
	v_lshrrev_b32_e32 v11, 16, v6
	v_add_co_ci_u32_e32 v1, vcc_lo, v2, v30, vcc_lo
	s_waitcnt vmcnt(1)
	v_mul_f16_sdwa v2, v14, v17 dst_sel:DWORD dst_unused:UNUSED_PAD src0_sel:DWORD src1_sel:WORD_1
	v_mul_f16_sdwa v29, v10, v17 dst_sel:DWORD dst_unused:UNUSED_PAD src0_sel:DWORD src1_sel:WORD_1
	;; [unrolled: 1-line block ×4, first 2 shown]
	s_waitcnt vmcnt(0)
	v_mul_f16_sdwa v36, v9, v37 dst_sel:DWORD dst_unused:UNUSED_PAD src0_sel:DWORD src1_sel:WORD_1
	v_mul_f16_sdwa v38, v5, v37 dst_sel:DWORD dst_unused:UNUSED_PAD src0_sel:DWORD src1_sel:WORD_1
	v_mul_f16_sdwa v30, v15, v18 dst_sel:DWORD dst_unused:UNUSED_PAD src0_sel:DWORD src1_sel:WORD_1
	v_mul_f16_sdwa v31, v7, v18 dst_sel:DWORD dst_unused:UNUSED_PAD src0_sel:DWORD src1_sel:WORD_1
	v_mul_f16_sdwa v34, v16, v20 dst_sel:DWORD dst_unused:UNUSED_PAD src0_sel:DWORD src1_sel:WORD_1
	v_mul_f16_sdwa v35, v11, v20 dst_sel:DWORD dst_unused:UNUSED_PAD src0_sel:DWORD src1_sel:WORD_1
	v_fmac_f16_e32 v2, v10, v17
	v_fma_f16 v10, v14, v17, -v29
	v_fmac_f16_e32 v32, v8, v19
	v_fma_f16 v8, v13, v19, -v33
	;; [unrolled: 2-line block ×5, first 2 shown]
	v_sub_f16_e32 v19, v8, v5
	v_add_f16_e32 v20, v10, v8
	v_add_f16_e32 v8, v8, v5
	;; [unrolled: 1-line block ×4, first 2 shown]
	v_sub_f16_e32 v14, v7, v11
	v_add_f16_e32 v15, v12, v7
	v_add_f16_e32 v7, v7, v11
	;; [unrolled: 1-line block ×4, first 2 shown]
	v_sub_f16_e32 v29, v32, v36
	v_fmac_f16_e32 v10, -0.5, v8
	v_sub_f16_e32 v16, v30, v34
	v_add_f16_e32 v9, v9, v34
	v_fmac_f16_e32 v6, -0.5, v13
	v_add_f16_e32 v11, v15, v11
	v_fmac_f16_e32 v12, -0.5, v7
	;; [unrolled: 2-line block ×3, first 2 shown]
	v_fmamk_f16 v15, v29, 0x3aee, v10
	v_add_f16_e32 v5, v20, v5
	v_fmac_f16_e32 v10, 0xbaee, v29
	v_fmamk_f16 v8, v14, 0xbaee, v6
	v_fmac_f16_e32 v6, 0x3aee, v14
	v_fmamk_f16 v13, v16, 0x3aee, v12
	;; [unrolled: 2-line block ×3, first 2 shown]
	v_add_f16_e32 v16, v9, v7
	v_sub_f16_e32 v7, v9, v7
	v_mul_f16_e32 v9, 0xbaee, v15
	v_mul_f16_e32 v15, 0.5, v15
	v_fmac_f16_e32 v2, 0x3aee, v19
	v_add_f16_e32 v17, v11, v5
	v_sub_f16_e32 v5, v11, v5
	v_mul_f16_e32 v11, 0xbaee, v10
	v_mul_f16_e32 v10, -0.5, v10
	v_fmac_f16_e32 v9, 0.5, v14
	v_fmac_f16_e32 v15, 0x3aee, v14
	v_pack_b32_f16 v16, v16, v17
	v_fmac_f16_e32 v11, -0.5, v2
	v_fmac_f16_e32 v10, 0x3aee, v2
	v_pack_b32_f16 v2, v7, v5
	v_add_f16_e32 v5, v8, v9
	v_add_f16_e32 v14, v13, v15
	;; [unrolled: 1-line block ×4, first 2 shown]
	v_sub_f16_e32 v8, v8, v9
	v_sub_f16_e32 v9, v13, v15
	v_sub_f16_e32 v6, v6, v11
	v_sub_f16_e32 v10, v12, v10
	v_pack_b32_f16 v5, v5, v14
	v_pack_b32_f16 v7, v7, v17
	global_store_dword v[3:4], v16, off
	v_pack_b32_f16 v3, v8, v9
	v_pack_b32_f16 v4, v6, v10
	global_store_dword v[21:22], v5, off
	global_store_dword v[23:24], v7, off
	;; [unrolled: 1-line block ×5, first 2 shown]
.LBB0_21:
	s_endpgm
	.section	.rodata,"a",@progbits
	.p2align	6, 0x0
	.amdhsa_kernel fft_rtc_back_len858_factors_13_11_6_wgs_234_tpt_78_halfLds_half_op_CI_CI_sbrr_dirReg
		.amdhsa_group_segment_fixed_size 0
		.amdhsa_private_segment_fixed_size 0
		.amdhsa_kernarg_size 104
		.amdhsa_user_sgpr_count 6
		.amdhsa_user_sgpr_private_segment_buffer 1
		.amdhsa_user_sgpr_dispatch_ptr 0
		.amdhsa_user_sgpr_queue_ptr 0
		.amdhsa_user_sgpr_kernarg_segment_ptr 1
		.amdhsa_user_sgpr_dispatch_id 0
		.amdhsa_user_sgpr_flat_scratch_init 0
		.amdhsa_user_sgpr_private_segment_size 0
		.amdhsa_wavefront_size32 1
		.amdhsa_uses_dynamic_stack 0
		.amdhsa_system_sgpr_private_segment_wavefront_offset 0
		.amdhsa_system_sgpr_workgroup_id_x 1
		.amdhsa_system_sgpr_workgroup_id_y 0
		.amdhsa_system_sgpr_workgroup_id_z 0
		.amdhsa_system_sgpr_workgroup_info 0
		.amdhsa_system_vgpr_workitem_id 0
		.amdhsa_next_free_vgpr 76
		.amdhsa_next_free_sgpr 31
		.amdhsa_reserve_vcc 1
		.amdhsa_reserve_flat_scratch 0
		.amdhsa_float_round_mode_32 0
		.amdhsa_float_round_mode_16_64 0
		.amdhsa_float_denorm_mode_32 3
		.amdhsa_float_denorm_mode_16_64 3
		.amdhsa_dx10_clamp 1
		.amdhsa_ieee_mode 1
		.amdhsa_fp16_overflow 0
		.amdhsa_workgroup_processor_mode 1
		.amdhsa_memory_ordered 1
		.amdhsa_forward_progress 0
		.amdhsa_shared_vgpr_count 0
		.amdhsa_exception_fp_ieee_invalid_op 0
		.amdhsa_exception_fp_denorm_src 0
		.amdhsa_exception_fp_ieee_div_zero 0
		.amdhsa_exception_fp_ieee_overflow 0
		.amdhsa_exception_fp_ieee_underflow 0
		.amdhsa_exception_fp_ieee_inexact 0
		.amdhsa_exception_int_div_zero 0
	.end_amdhsa_kernel
	.text
.Lfunc_end0:
	.size	fft_rtc_back_len858_factors_13_11_6_wgs_234_tpt_78_halfLds_half_op_CI_CI_sbrr_dirReg, .Lfunc_end0-fft_rtc_back_len858_factors_13_11_6_wgs_234_tpt_78_halfLds_half_op_CI_CI_sbrr_dirReg
                                        ; -- End function
	.section	.AMDGPU.csdata,"",@progbits
; Kernel info:
; codeLenInByte = 9548
; NumSgprs: 33
; NumVgprs: 76
; ScratchSize: 0
; MemoryBound: 0
; FloatMode: 240
; IeeeMode: 1
; LDSByteSize: 0 bytes/workgroup (compile time only)
; SGPRBlocks: 4
; VGPRBlocks: 9
; NumSGPRsForWavesPerEU: 33
; NumVGPRsForWavesPerEU: 76
; Occupancy: 12
; WaveLimiterHint : 1
; COMPUTE_PGM_RSRC2:SCRATCH_EN: 0
; COMPUTE_PGM_RSRC2:USER_SGPR: 6
; COMPUTE_PGM_RSRC2:TRAP_HANDLER: 0
; COMPUTE_PGM_RSRC2:TGID_X_EN: 1
; COMPUTE_PGM_RSRC2:TGID_Y_EN: 0
; COMPUTE_PGM_RSRC2:TGID_Z_EN: 0
; COMPUTE_PGM_RSRC2:TIDIG_COMP_CNT: 0
	.text
	.p2alignl 6, 3214868480
	.fill 48, 4, 3214868480
	.type	__hip_cuid_2f7f67b06e825498,@object ; @__hip_cuid_2f7f67b06e825498
	.section	.bss,"aw",@nobits
	.globl	__hip_cuid_2f7f67b06e825498
__hip_cuid_2f7f67b06e825498:
	.byte	0                               ; 0x0
	.size	__hip_cuid_2f7f67b06e825498, 1

	.ident	"AMD clang version 19.0.0git (https://github.com/RadeonOpenCompute/llvm-project roc-6.4.0 25133 c7fe45cf4b819c5991fe208aaa96edf142730f1d)"
	.section	".note.GNU-stack","",@progbits
	.addrsig
	.addrsig_sym __hip_cuid_2f7f67b06e825498
	.amdgpu_metadata
---
amdhsa.kernels:
  - .args:
      - .actual_access:  read_only
        .address_space:  global
        .offset:         0
        .size:           8
        .value_kind:     global_buffer
      - .offset:         8
        .size:           8
        .value_kind:     by_value
      - .actual_access:  read_only
        .address_space:  global
        .offset:         16
        .size:           8
        .value_kind:     global_buffer
      - .actual_access:  read_only
        .address_space:  global
        .offset:         24
        .size:           8
        .value_kind:     global_buffer
      - .actual_access:  read_only
        .address_space:  global
        .offset:         32
        .size:           8
        .value_kind:     global_buffer
      - .offset:         40
        .size:           8
        .value_kind:     by_value
      - .actual_access:  read_only
        .address_space:  global
        .offset:         48
        .size:           8
        .value_kind:     global_buffer
      - .actual_access:  read_only
        .address_space:  global
        .offset:         56
        .size:           8
        .value_kind:     global_buffer
      - .offset:         64
        .size:           4
        .value_kind:     by_value
      - .actual_access:  read_only
        .address_space:  global
        .offset:         72
        .size:           8
        .value_kind:     global_buffer
      - .actual_access:  read_only
        .address_space:  global
        .offset:         80
        .size:           8
        .value_kind:     global_buffer
      - .actual_access:  read_only
        .address_space:  global
        .offset:         88
        .size:           8
        .value_kind:     global_buffer
      - .actual_access:  write_only
        .address_space:  global
        .offset:         96
        .size:           8
        .value_kind:     global_buffer
    .group_segment_fixed_size: 0
    .kernarg_segment_align: 8
    .kernarg_segment_size: 104
    .language:       OpenCL C
    .language_version:
      - 2
      - 0
    .max_flat_workgroup_size: 234
    .name:           fft_rtc_back_len858_factors_13_11_6_wgs_234_tpt_78_halfLds_half_op_CI_CI_sbrr_dirReg
    .private_segment_fixed_size: 0
    .sgpr_count:     33
    .sgpr_spill_count: 0
    .symbol:         fft_rtc_back_len858_factors_13_11_6_wgs_234_tpt_78_halfLds_half_op_CI_CI_sbrr_dirReg.kd
    .uniform_work_group_size: 1
    .uses_dynamic_stack: false
    .vgpr_count:     76
    .vgpr_spill_count: 0
    .wavefront_size: 32
    .workgroup_processor_mode: 1
amdhsa.target:   amdgcn-amd-amdhsa--gfx1030
amdhsa.version:
  - 1
  - 2
...

	.end_amdgpu_metadata
